;; amdgpu-corpus repo=ROCm/rocFFT kind=compiled arch=gfx1030 opt=O3
	.text
	.amdgcn_target "amdgcn-amd-amdhsa--gfx1030"
	.amdhsa_code_object_version 6
	.protected	fft_rtc_back_len1452_factors_11_3_11_4_wgs_132_tpt_132_halfLds_sp_op_CI_CI_unitstride_sbrr_dirReg ; -- Begin function fft_rtc_back_len1452_factors_11_3_11_4_wgs_132_tpt_132_halfLds_sp_op_CI_CI_unitstride_sbrr_dirReg
	.globl	fft_rtc_back_len1452_factors_11_3_11_4_wgs_132_tpt_132_halfLds_sp_op_CI_CI_unitstride_sbrr_dirReg
	.p2align	8
	.type	fft_rtc_back_len1452_factors_11_3_11_4_wgs_132_tpt_132_halfLds_sp_op_CI_CI_unitstride_sbrr_dirReg,@function
fft_rtc_back_len1452_factors_11_3_11_4_wgs_132_tpt_132_halfLds_sp_op_CI_CI_unitstride_sbrr_dirReg: ; @fft_rtc_back_len1452_factors_11_3_11_4_wgs_132_tpt_132_halfLds_sp_op_CI_CI_unitstride_sbrr_dirReg
; %bb.0:
	s_clause 0x2
	s_load_dwordx4 s[8:11], s[4:5], 0x0
	s_load_dwordx4 s[12:15], s[4:5], 0x58
	;; [unrolled: 1-line block ×3, first 2 shown]
	v_mul_u32_u24_e32 v2, 0x1f1, v0
	v_mov_b32_e32 v1, 0
	v_mov_b32_e32 v4, 0
	;; [unrolled: 1-line block ×3, first 2 shown]
	v_add_nc_u32_sdwa v6, s6, v2 dst_sel:DWORD dst_unused:UNUSED_PAD src0_sel:DWORD src1_sel:WORD_1
	v_mov_b32_e32 v7, v1
	s_waitcnt lgkmcnt(0)
	v_cmp_lt_u64_e64 s0, s[10:11], 2
	s_and_b32 vcc_lo, exec_lo, s0
	s_cbranch_vccnz .LBB0_8
; %bb.1:
	s_load_dwordx2 s[0:1], s[4:5], 0x10
	v_mov_b32_e32 v4, 0
	v_mov_b32_e32 v5, 0
	s_add_u32 s2, s18, 8
	s_addc_u32 s3, s19, 0
	s_add_u32 s6, s16, 8
	s_addc_u32 s7, s17, 0
	v_mov_b32_e32 v9, v5
	v_mov_b32_e32 v8, v4
	s_mov_b64 s[22:23], 1
	s_waitcnt lgkmcnt(0)
	s_add_u32 s20, s0, 8
	s_addc_u32 s21, s1, 0
.LBB0_2:                                ; =>This Inner Loop Header: Depth=1
	s_load_dwordx2 s[24:25], s[20:21], 0x0
                                        ; implicit-def: $vgpr10_vgpr11
	s_mov_b32 s0, exec_lo
	s_waitcnt lgkmcnt(0)
	v_or_b32_e32 v2, s25, v7
	v_cmpx_ne_u64_e32 0, v[1:2]
	s_xor_b32 s1, exec_lo, s0
	s_cbranch_execz .LBB0_4
; %bb.3:                                ;   in Loop: Header=BB0_2 Depth=1
	v_cvt_f32_u32_e32 v2, s24
	v_cvt_f32_u32_e32 v3, s25
	s_sub_u32 s0, 0, s24
	s_subb_u32 s26, 0, s25
	v_fmac_f32_e32 v2, 0x4f800000, v3
	v_rcp_f32_e32 v2, v2
	v_mul_f32_e32 v2, 0x5f7ffffc, v2
	v_mul_f32_e32 v3, 0x2f800000, v2
	v_trunc_f32_e32 v3, v3
	v_fmac_f32_e32 v2, 0xcf800000, v3
	v_cvt_u32_f32_e32 v3, v3
	v_cvt_u32_f32_e32 v2, v2
	v_mul_lo_u32 v10, s0, v3
	v_mul_hi_u32 v11, s0, v2
	v_mul_lo_u32 v12, s26, v2
	v_add_nc_u32_e32 v10, v11, v10
	v_mul_lo_u32 v11, s0, v2
	v_add_nc_u32_e32 v10, v10, v12
	v_mul_hi_u32 v12, v2, v11
	v_mul_lo_u32 v13, v2, v10
	v_mul_hi_u32 v14, v2, v10
	v_mul_hi_u32 v15, v3, v11
	v_mul_lo_u32 v11, v3, v11
	v_mul_hi_u32 v16, v3, v10
	v_mul_lo_u32 v10, v3, v10
	v_add_co_u32 v12, vcc_lo, v12, v13
	v_add_co_ci_u32_e32 v13, vcc_lo, 0, v14, vcc_lo
	v_add_co_u32 v11, vcc_lo, v12, v11
	v_add_co_ci_u32_e32 v11, vcc_lo, v13, v15, vcc_lo
	v_add_co_ci_u32_e32 v12, vcc_lo, 0, v16, vcc_lo
	v_add_co_u32 v10, vcc_lo, v11, v10
	v_add_co_ci_u32_e32 v11, vcc_lo, 0, v12, vcc_lo
	v_add_co_u32 v2, vcc_lo, v2, v10
	v_add_co_ci_u32_e32 v3, vcc_lo, v3, v11, vcc_lo
	v_mul_hi_u32 v10, s0, v2
	v_mul_lo_u32 v12, s26, v2
	v_mul_lo_u32 v11, s0, v3
	v_add_nc_u32_e32 v10, v10, v11
	v_mul_lo_u32 v11, s0, v2
	v_add_nc_u32_e32 v10, v10, v12
	v_mul_hi_u32 v12, v2, v11
	v_mul_lo_u32 v13, v2, v10
	v_mul_hi_u32 v14, v2, v10
	v_mul_hi_u32 v15, v3, v11
	v_mul_lo_u32 v11, v3, v11
	v_mul_hi_u32 v16, v3, v10
	v_mul_lo_u32 v10, v3, v10
	v_add_co_u32 v12, vcc_lo, v12, v13
	v_add_co_ci_u32_e32 v13, vcc_lo, 0, v14, vcc_lo
	v_add_co_u32 v11, vcc_lo, v12, v11
	v_add_co_ci_u32_e32 v11, vcc_lo, v13, v15, vcc_lo
	v_add_co_ci_u32_e32 v12, vcc_lo, 0, v16, vcc_lo
	v_add_co_u32 v10, vcc_lo, v11, v10
	v_add_co_ci_u32_e32 v11, vcc_lo, 0, v12, vcc_lo
	v_add_co_u32 v10, vcc_lo, v2, v10
	v_add_co_ci_u32_e32 v12, vcc_lo, v3, v11, vcc_lo
	v_mul_hi_u32 v14, v6, v10
	v_mad_u64_u32 v[10:11], null, v7, v10, 0
	v_mad_u64_u32 v[2:3], null, v6, v12, 0
	;; [unrolled: 1-line block ×3, first 2 shown]
	v_add_co_u32 v2, vcc_lo, v14, v2
	v_add_co_ci_u32_e32 v3, vcc_lo, 0, v3, vcc_lo
	v_add_co_u32 v2, vcc_lo, v2, v10
	v_add_co_ci_u32_e32 v2, vcc_lo, v3, v11, vcc_lo
	v_add_co_ci_u32_e32 v3, vcc_lo, 0, v13, vcc_lo
	v_add_co_u32 v10, vcc_lo, v2, v12
	v_add_co_ci_u32_e32 v11, vcc_lo, 0, v3, vcc_lo
	v_mul_lo_u32 v12, s25, v10
	v_mad_u64_u32 v[2:3], null, s24, v10, 0
	v_mul_lo_u32 v13, s24, v11
	v_sub_co_u32 v2, vcc_lo, v6, v2
	v_add3_u32 v3, v3, v13, v12
	v_sub_nc_u32_e32 v12, v7, v3
	v_subrev_co_ci_u32_e64 v12, s0, s25, v12, vcc_lo
	v_add_co_u32 v13, s0, v10, 2
	v_add_co_ci_u32_e64 v14, s0, 0, v11, s0
	v_sub_co_u32 v15, s0, v2, s24
	v_sub_co_ci_u32_e32 v3, vcc_lo, v7, v3, vcc_lo
	v_subrev_co_ci_u32_e64 v12, s0, 0, v12, s0
	v_cmp_le_u32_e32 vcc_lo, s24, v15
	v_cmp_eq_u32_e64 s0, s25, v3
	v_cndmask_b32_e64 v15, 0, -1, vcc_lo
	v_cmp_le_u32_e32 vcc_lo, s25, v12
	v_cndmask_b32_e64 v16, 0, -1, vcc_lo
	v_cmp_le_u32_e32 vcc_lo, s24, v2
	;; [unrolled: 2-line block ×3, first 2 shown]
	v_cndmask_b32_e64 v17, 0, -1, vcc_lo
	v_cmp_eq_u32_e32 vcc_lo, s25, v12
	v_cndmask_b32_e64 v2, v17, v2, s0
	v_cndmask_b32_e32 v12, v16, v15, vcc_lo
	v_add_co_u32 v15, vcc_lo, v10, 1
	v_add_co_ci_u32_e32 v16, vcc_lo, 0, v11, vcc_lo
	v_cmp_ne_u32_e32 vcc_lo, 0, v12
	v_cndmask_b32_e32 v3, v16, v14, vcc_lo
	v_cndmask_b32_e32 v12, v15, v13, vcc_lo
	v_cmp_ne_u32_e32 vcc_lo, 0, v2
	v_cndmask_b32_e32 v11, v11, v3, vcc_lo
	v_cndmask_b32_e32 v10, v10, v12, vcc_lo
.LBB0_4:                                ;   in Loop: Header=BB0_2 Depth=1
	s_andn2_saveexec_b32 s0, s1
	s_cbranch_execz .LBB0_6
; %bb.5:                                ;   in Loop: Header=BB0_2 Depth=1
	v_cvt_f32_u32_e32 v2, s24
	s_sub_i32 s1, 0, s24
	v_rcp_iflag_f32_e32 v2, v2
	v_mul_f32_e32 v2, 0x4f7ffffe, v2
	v_cvt_u32_f32_e32 v2, v2
	v_mul_lo_u32 v3, s1, v2
	v_mul_hi_u32 v3, v2, v3
	v_add_nc_u32_e32 v2, v2, v3
	v_mul_hi_u32 v2, v6, v2
	v_mul_lo_u32 v3, v2, s24
	v_add_nc_u32_e32 v10, 1, v2
	v_sub_nc_u32_e32 v3, v6, v3
	v_subrev_nc_u32_e32 v11, s24, v3
	v_cmp_le_u32_e32 vcc_lo, s24, v3
	v_cndmask_b32_e32 v3, v3, v11, vcc_lo
	v_cndmask_b32_e32 v2, v2, v10, vcc_lo
	v_mov_b32_e32 v11, v1
	v_cmp_le_u32_e32 vcc_lo, s24, v3
	v_add_nc_u32_e32 v10, 1, v2
	v_cndmask_b32_e32 v10, v2, v10, vcc_lo
.LBB0_6:                                ;   in Loop: Header=BB0_2 Depth=1
	s_or_b32 exec_lo, exec_lo, s0
	v_mul_lo_u32 v12, v11, s24
	v_mul_lo_u32 v13, v10, s25
	s_load_dwordx2 s[0:1], s[6:7], 0x0
	v_mad_u64_u32 v[2:3], null, v10, s24, 0
	s_load_dwordx2 s[24:25], s[2:3], 0x0
	s_add_u32 s22, s22, 1
	s_addc_u32 s23, s23, 0
	s_add_u32 s2, s2, 8
	s_addc_u32 s3, s3, 0
	s_add_u32 s6, s6, 8
	v_add3_u32 v3, v3, v13, v12
	v_sub_co_u32 v2, vcc_lo, v6, v2
	s_addc_u32 s7, s7, 0
	s_add_u32 s20, s20, 8
	v_sub_co_ci_u32_e32 v3, vcc_lo, v7, v3, vcc_lo
	s_addc_u32 s21, s21, 0
	s_waitcnt lgkmcnt(0)
	v_mul_lo_u32 v6, s0, v3
	v_mul_lo_u32 v7, s1, v2
	v_mad_u64_u32 v[4:5], null, s0, v2, v[4:5]
	v_mul_lo_u32 v3, s24, v3
	v_mul_lo_u32 v12, s25, v2
	v_mad_u64_u32 v[8:9], null, s24, v2, v[8:9]
	v_cmp_ge_u64_e64 s0, s[22:23], s[10:11]
	v_add3_u32 v5, v7, v5, v6
	v_add3_u32 v9, v12, v9, v3
	s_and_b32 vcc_lo, exec_lo, s0
	s_cbranch_vccnz .LBB0_9
; %bb.7:                                ;   in Loop: Header=BB0_2 Depth=1
	v_mov_b32_e32 v6, v10
	v_mov_b32_e32 v7, v11
	s_branch .LBB0_2
.LBB0_8:
	v_mov_b32_e32 v9, v5
	v_mov_b32_e32 v11, v7
	;; [unrolled: 1-line block ×4, first 2 shown]
.LBB0_9:
	s_load_dwordx2 s[0:1], s[4:5], 0x28
	v_mul_hi_u32 v2, 0x1f07c20, v0
	s_lshl_b64 s[4:5], s[10:11], 3
                                        ; implicit-def: $sgpr6_sgpr7
                                        ; implicit-def: $vgpr34
	s_add_u32 s2, s18, s4
	s_addc_u32 s3, s19, s5
	s_waitcnt lgkmcnt(0)
	v_cmp_gt_u64_e32 vcc_lo, s[0:1], v[10:11]
	v_cmp_le_u64_e64 s0, s[0:1], v[10:11]
	s_and_saveexec_b32 s1, s0
	s_xor_b32 s0, exec_lo, s1
; %bb.10:
	v_mul_u32_u24_e32 v1, 0x84, v2
	s_mov_b64 s[6:7], 0
                                        ; implicit-def: $vgpr2
                                        ; implicit-def: $vgpr4_vgpr5
	v_sub_nc_u32_e32 v34, v0, v1
                                        ; implicit-def: $vgpr0
; %bb.11:
	s_or_saveexec_b32 s1, s0
	v_mov_b32_e32 v23, s7
	v_mov_b32_e32 v22, s6
                                        ; implicit-def: $vgpr33
                                        ; implicit-def: $vgpr31
                                        ; implicit-def: $vgpr21
                                        ; implicit-def: $vgpr13
                                        ; implicit-def: $vgpr1
                                        ; implicit-def: $vgpr3
                                        ; implicit-def: $vgpr25
                                        ; implicit-def: $vgpr29
                                        ; implicit-def: $vgpr27
                                        ; implicit-def: $vgpr19
	s_xor_b32 exec_lo, exec_lo, s1
	s_cbranch_execz .LBB0_13
; %bb.12:
	s_add_u32 s4, s16, s4
	s_addc_u32 s5, s17, s5
	v_mul_u32_u24_e32 v12, 0x84, v2
	s_load_dwordx2 s[4:5], s[4:5], 0x0
	v_sub_nc_u32_e32 v34, v0, v12
	s_waitcnt lgkmcnt(0)
	v_mul_lo_u32 v1, s5, v10
	v_mul_lo_u32 v3, s4, v11
	v_mad_u64_u32 v[6:7], null, s4, v10, 0
	v_add3_u32 v7, v7, v3, v1
	v_lshlrev_b64 v[3:4], 3, v[4:5]
	v_lshlrev_b64 v[1:2], 3, v[6:7]
	v_add_co_u32 v0, s0, s12, v1
	v_add_co_ci_u32_e64 v1, s0, s13, v2, s0
	v_lshlrev_b32_e32 v2, 3, v34
	v_add_co_u32 v0, s0, v0, v3
	v_add_co_ci_u32_e64 v1, s0, v1, v4, s0
	v_add_co_u32 v0, s0, v0, v2
	v_add_co_ci_u32_e64 v1, s0, 0, v1, s0
	;; [unrolled: 2-line block ×7, first 2 shown]
	s_clause 0xa
	global_load_dwordx2 v[22:23], v[0:1], off
	global_load_dwordx2 v[32:33], v[0:1], off offset:1056
	global_load_dwordx2 v[30:31], v[2:3], off offset:64
	;; [unrolled: 1-line block ×10, first 2 shown]
.LBB0_13:
	s_or_b32 exec_lo, exec_lo, s1
	s_waitcnt vmcnt(0)
	v_sub_f32_e32 v5, v33, v27
	v_add_f32_e32 v6, v32, v26
	v_sub_f32_e32 v14, v31, v29
	v_add_f32_e32 v7, v30, v28
	v_add_f32_e32 v4, v32, v22
	v_mul_f32_e32 v15, 0xbf0a6770, v5
	v_mul_f32_e32 v16, 0xbf68dda4, v5
	;; [unrolled: 1-line block ×6, first 2 shown]
	v_fmamk_f32 v39, v6, 0x3f575c64, v15
	v_fma_f32 v15, 0x3f575c64, v6, -v15
	v_mul_f32_e32 v37, 0xbf4178ce, v14
	v_mul_f32_e32 v38, 0x3e903f40, v14
	v_fmamk_f32 v40, v6, 0x3ed4b147, v16
	v_fma_f32 v16, 0x3ed4b147, v6, -v16
	v_fmamk_f32 v41, v6, 0xbe11bafb, v17
	v_fma_f32 v17, 0xbe11bafb, v6, -v17
	;; [unrolled: 2-line block ×5, first 2 shown]
	v_add_f32_e32 v15, v15, v22
	v_add_f32_e32 v39, v39, v22
	;; [unrolled: 1-line block ×10, first 2 shown]
	v_fmamk_f32 v22, v7, 0xbf27a4f4, v37
	v_fma_f32 v37, 0xbf27a4f4, v7, -v37
	v_add_f32_e32 v15, v36, v15
	v_fmamk_f32 v36, v7, 0xbf75a155, v38
	v_fma_f32 v38, 0xbf75a155, v7, -v38
	v_add_f32_e32 v6, v6, v39
	v_add_f32_e32 v16, v37, v16
	v_mul_f32_e32 v37, 0x3f7d64f0, v14
	v_mul_f32_e32 v14, 0x3f0a6770, v14
	v_add_f32_e32 v17, v38, v17
	v_sub_f32_e32 v38, v21, v25
	v_add_f32_e32 v22, v22, v40
	v_add_f32_e32 v36, v36, v41
	v_fmamk_f32 v39, v7, 0xbe11bafb, v37
	v_fma_f32 v37, 0xbe11bafb, v7, -v37
	v_add_f32_e32 v40, v20, v24
	v_mul_f32_e32 v41, 0xbf7d64f0, v38
	v_fmamk_f32 v44, v7, 0x3f575c64, v14
	v_fma_f32 v7, 0x3f575c64, v7, -v14
	v_add_f32_e32 v39, v39, v42
	v_mul_f32_e32 v42, 0x3e903f40, v38
	;; [unrolled: 4-line block ×3, first 2 shown]
	v_add_f32_e32 v35, v37, v35
	v_add_f32_e32 v37, v44, v43
	;; [unrolled: 1-line block ×3, first 2 shown]
	v_fmamk_f32 v14, v40, 0xbf75a155, v42
	v_add_f32_e32 v15, v41, v15
	v_fma_f32 v41, 0xbf75a155, v40, -v42
	v_mul_f32_e32 v42, 0xbf0a6770, v38
	v_fmamk_f32 v43, v40, 0x3ed4b147, v7
	v_fma_f32 v7, 0x3ed4b147, v40, -v7
	v_add_f32_e32 v14, v14, v22
	v_mul_f32_e32 v38, 0xbf4178ce, v38
	v_fmamk_f32 v22, v40, 0x3f575c64, v42
	v_add_f32_e32 v16, v41, v16
	v_add_f32_e32 v7, v7, v17
	v_sub_f32_e32 v17, v13, v19
	v_add_f32_e32 v36, v43, v36
	v_add_f32_e32 v22, v22, v39
	v_fma_f32 v39, 0x3f575c64, v40, -v42
	v_fmamk_f32 v41, v40, 0xbf27a4f4, v38
	v_add_f32_e32 v42, v12, v18
	v_mul_f32_e32 v43, 0xbf4178ce, v17
	v_add_f32_e32 v4, v30, v4
	v_fma_f32 v38, 0xbf27a4f4, v40, -v38
	v_add_f32_e32 v35, v39, v35
	v_add_f32_e32 v37, v41, v37
	v_mul_f32_e32 v39, 0x3f7d64f0, v17
	v_fmamk_f32 v40, v42, 0xbf27a4f4, v43
	v_mul_f32_e32 v41, 0xbf0a6770, v17
	v_add_f32_e32 v4, v20, v4
	v_add_f32_e32 v5, v38, v5
	v_fma_f32 v38, 0xbf27a4f4, v42, -v43
	v_fmamk_f32 v43, v42, 0xbe11bafb, v39
	v_add_f32_e32 v6, v40, v6
	v_fma_f32 v39, 0xbe11bafb, v42, -v39
	v_fma_f32 v40, 0x3f575c64, v42, -v41
	v_add_f32_e32 v4, v12, v4
	v_add_f32_e32 v15, v38, v15
	v_fmamk_f32 v38, v42, 0x3f575c64, v41
	v_add_f32_e32 v16, v39, v16
	v_mul_f32_e32 v39, 0xbe903f40, v17
	v_add_f32_e32 v7, v40, v7
	v_sub_f32_e32 v40, v1, v3
	v_add_f32_e32 v4, v0, v4
	v_add_f32_e32 v14, v43, v14
	;; [unrolled: 1-line block ×3, first 2 shown]
	v_mul_f32_e32 v17, 0x3f68dda4, v17
	v_fmamk_f32 v36, v42, 0xbf75a155, v39
	v_fma_f32 v39, 0xbf75a155, v42, -v39
	v_add_f32_e32 v43, v0, v2
	v_mul_f32_e32 v44, 0xbe903f40, v40
	v_add_f32_e32 v4, v2, v4
	v_fmamk_f32 v41, v42, 0x3ed4b147, v17
	v_add_f32_e32 v22, v36, v22
	v_fma_f32 v17, 0x3ed4b147, v42, -v17
	v_add_f32_e32 v42, v39, v35
	v_fmamk_f32 v35, v43, 0xbf75a155, v44
	v_mul_f32_e32 v36, 0x3f0a6770, v40
	v_add_f32_e32 v4, v18, v4
	v_add_f32_e32 v37, v41, v37
	;; [unrolled: 1-line block ×3, first 2 shown]
	v_fma_f32 v17, 0xbf75a155, v43, -v44
	v_mul_f32_e32 v39, 0xbf4178ce, v40
	v_add_f32_e32 v6, v35, v6
	v_fmamk_f32 v35, v43, 0x3f575c64, v36
	v_fma_f32 v41, 0x3f575c64, v43, -v36
	v_add_f32_e32 v4, v24, v4
	v_add_f32_e32 v36, v17, v15
	v_fmamk_f32 v15, v43, 0xbf27a4f4, v39
	v_mul_f32_e32 v17, 0x3f68dda4, v40
	v_add_f32_e32 v14, v35, v14
	v_add_f32_e32 v35, v41, v16
	v_mul_f32_e32 v16, 0xbf7d64f0, v40
	v_add_f32_e32 v4, v28, v4
	v_add_f32_e32 v15, v15, v38
	v_fmamk_f32 v38, v43, 0x3ed4b147, v17
	v_fma_f32 v17, 0x3ed4b147, v43, -v17
	v_fmamk_f32 v41, v43, 0xbe11bafb, v16
	v_fma_f32 v16, 0xbe11bafb, v43, -v16
	v_add_f32_e32 v4, v26, v4
	v_fma_f32 v40, 0xbf27a4f4, v43, -v39
	v_mad_u32_u24 v39, v34, 44, 0
	v_add_f32_e32 v22, v38, v22
	v_add_f32_e32 v37, v41, v37
	;; [unrolled: 1-line block ×4, first 2 shown]
	s_load_dwordx2 s[2:3], s[2:3], 0x0
	ds_write2_b32 v39, v4, v6 offset1:1
	ds_write2_b32 v39, v14, v15 offset0:2 offset1:3
	ds_write2_b32 v39, v22, v37 offset0:4 offset1:5
	;; [unrolled: 1-line block ×3, first 2 shown]
	v_mad_i32_i24 v22, 0xffffffd8, v34, v39
	v_add_f32_e32 v7, v40, v7
	ds_write2_b32 v39, v7, v35 offset0:8 offset1:9
	ds_write_b32 v39, v36 offset:40
	v_add_nc_u32_e32 v40, 0x400, v22
	v_add_nc_u32_e32 v41, 0xe00, v22
	;; [unrolled: 1-line block ×3, first 2 shown]
	s_waitcnt lgkmcnt(0)
	s_barrier
	buffer_gl0_inv
	ds_read2_b32 v[6:7], v22 offset1:132
	ds_read2_b32 v[4:5], v40 offset0:8 offset1:228
	ds_read2_b32 v[14:15], v41 offset0:72 offset1:204
	;; [unrolled: 1-line block ×3, first 2 shown]
	ds_read_b32 v37, v22 offset:4928
	v_cmp_gt_u32_e64 s0, 0x58, v34
                                        ; implicit-def: $vgpr38
	s_and_saveexec_b32 s1, s0
	s_cbranch_execz .LBB0_15
; %bb.14:
	ds_read_b32 v35, v22 offset:1584
	ds_read_b32 v36, v22 offset:3520
	;; [unrolled: 1-line block ×3, first 2 shown]
.LBB0_15:
	s_or_b32 exec_lo, exec_lo, s1
	v_add_f32_e32 v43, v33, v23
	v_sub_f32_e32 v28, v30, v28
	v_sub_f32_e32 v26, v32, v26
	v_add_f32_e32 v32, v33, v27
	v_add_f32_e32 v33, v31, v29
	;; [unrolled: 1-line block ×3, first 2 shown]
	v_mul_f32_e32 v46, 0xbf68dda4, v28
	v_mul_f32_e32 v31, 0xbf0a6770, v26
	v_mul_f32_e32 v43, 0xbf68dda4, v26
	v_mul_f32_e32 v44, 0xbf7d64f0, v26
	v_add_f32_e32 v30, v21, v30
	v_mul_f32_e32 v45, 0xbf4178ce, v26
	v_mul_f32_e32 v26, 0xbe903f40, v26
	v_fma_f32 v49, 0x3f575c64, v32, -v31
	v_fmac_f32_e32 v31, 0x3f575c64, v32
	v_add_f32_e32 v30, v13, v30
	v_mul_f32_e32 v47, 0xbf4178ce, v28
	v_fma_f32 v50, 0x3ed4b147, v32, -v43
	v_fmac_f32_e32 v43, 0x3ed4b147, v32
	v_fma_f32 v51, 0xbe11bafb, v32, -v44
	v_add_f32_e32 v30, v1, v30
	v_fmac_f32_e32 v44, 0xbe11bafb, v32
	v_fma_f32 v52, 0xbf27a4f4, v32, -v45
	v_fmac_f32_e32 v45, 0xbf27a4f4, v32
	v_fma_f32 v53, 0xbf75a155, v32, -v26
	v_add_f32_e32 v30, v3, v30
	v_fmac_f32_e32 v26, 0xbf75a155, v32
	v_fma_f32 v32, 0x3ed4b147, v33, -v46
	v_fmac_f32_e32 v46, 0x3ed4b147, v33
	v_add_f32_e32 v31, v31, v23
	v_add_f32_e32 v30, v19, v30
	v_mul_f32_e32 v48, 0x3e903f40, v28
	v_fma_f32 v54, 0xbf27a4f4, v33, -v47
	v_add_f32_e32 v43, v43, v23
	v_fmac_f32_e32 v47, 0xbf27a4f4, v33
	v_add_f32_e32 v30, v25, v30
	v_sub_f32_e32 v20, v20, v24
	v_add_f32_e32 v49, v49, v23
	v_add_f32_e32 v21, v21, v25
	v_add_f32_e32 v43, v47, v43
	v_add_f32_e32 v29, v29, v30
	v_add_f32_e32 v30, v45, v23
	v_add_f32_e32 v45, v53, v23
	v_mul_f32_e32 v25, 0xbf7d64f0, v20
	v_add_f32_e32 v50, v50, v23
	v_add_f32_e32 v27, v27, v29
	;; [unrolled: 1-line block ×3, first 2 shown]
	v_mul_f32_e32 v46, 0x3f7d64f0, v28
	v_mul_f32_e32 v28, 0x3f0a6770, v28
	v_add_f32_e32 v51, v51, v23
	v_add_f32_e32 v44, v44, v23
	;; [unrolled: 1-line block ×3, first 2 shown]
	v_fma_f32 v24, 0xbe11bafb, v33, -v46
	v_fmac_f32_e32 v46, 0xbe11bafb, v33
	v_fma_f32 v47, 0x3f575c64, v33, -v28
	v_add_f32_e32 v23, v26, v23
	v_add_f32_e32 v26, v32, v49
	v_fma_f32 v31, 0xbf75a155, v33, -v48
	v_fmac_f32_e32 v48, 0xbf75a155, v33
	v_fmac_f32_e32 v28, 0x3f575c64, v33
	v_add_f32_e32 v30, v46, v30
	v_add_f32_e32 v33, v47, v45
	v_fma_f32 v45, 0xbe11bafb, v21, -v25
	v_mul_f32_e32 v46, 0x3e903f40, v20
	v_add_f32_e32 v32, v54, v50
	v_add_f32_e32 v23, v28, v23
	v_fmac_f32_e32 v25, 0xbe11bafb, v21
	v_mul_f32_e32 v28, 0x3f68dda4, v20
	v_add_f32_e32 v26, v45, v26
	v_fma_f32 v45, 0xbf75a155, v21, -v46
	v_add_f32_e32 v31, v31, v51
	v_add_f32_e32 v25, v25, v29
	v_fma_f32 v29, 0x3ed4b147, v21, -v28
	v_sub_f32_e32 v12, v12, v18
	v_add_f32_e32 v32, v45, v32
	v_mul_f32_e32 v45, 0xbf0a6770, v20
	v_mul_f32_e32 v18, 0xbf4178ce, v20
	v_add_f32_e32 v24, v24, v52
	v_add_f32_e32 v29, v29, v31
	;; [unrolled: 1-line block ×3, first 2 shown]
	v_fma_f32 v20, 0x3f575c64, v21, -v45
	v_fmac_f32_e32 v45, 0x3f575c64, v21
	v_mul_f32_e32 v19, 0xbf4178ce, v12
	v_fma_f32 v31, 0xbf27a4f4, v21, -v18
	v_fmac_f32_e32 v46, 0xbf75a155, v21
	v_fmac_f32_e32 v28, 0x3ed4b147, v21
	v_add_f32_e32 v20, v20, v24
	v_add_f32_e32 v24, v45, v30
	v_fmac_f32_e32 v18, 0xbf27a4f4, v21
	v_fma_f32 v21, 0xbf27a4f4, v13, -v19
	v_add_f32_e32 v30, v31, v33
	v_mul_f32_e32 v31, 0x3f7d64f0, v12
	v_fmac_f32_e32 v19, 0xbf27a4f4, v13
	v_add_f32_e32 v44, v48, v44
	v_add_f32_e32 v21, v21, v26
	;; [unrolled: 1-line block ×3, first 2 shown]
	v_fma_f32 v26, 0xbe11bafb, v13, -v31
	v_add_f32_e32 v19, v19, v25
	v_mul_f32_e32 v25, 0xbe903f40, v12
	v_mul_f32_e32 v23, 0xbf0a6770, v12
	;; [unrolled: 1-line block ×3, first 2 shown]
	v_add_f32_e32 v26, v26, v32
	v_sub_f32_e32 v0, v0, v2
	v_fma_f32 v32, 0xbf75a155, v13, -v25
	v_fmac_f32_e32 v25, 0xbf75a155, v13
	v_add_f32_e32 v28, v28, v44
	v_fmac_f32_e32 v31, 0xbe11bafb, v13
	v_fma_f32 v33, 0x3f575c64, v13, -v23
	v_fmac_f32_e32 v23, 0x3f575c64, v13
	v_add_f32_e32 v2, v32, v20
	v_fma_f32 v20, 0x3ed4b147, v13, -v12
	v_add_f32_e32 v1, v1, v3
	v_mul_f32_e32 v3, 0xbe903f40, v0
	v_fmac_f32_e32 v12, 0x3ed4b147, v13
	v_add_f32_e32 v13, v25, v24
	v_mul_f32_e32 v25, 0x3f0a6770, v0
	v_add_f32_e32 v43, v46, v43
	v_add_f32_e32 v23, v23, v28
	;; [unrolled: 1-line block ×3, first 2 shown]
	v_fma_f32 v20, 0xbf75a155, v1, -v3
	v_fmac_f32_e32 v3, 0xbf75a155, v1
	v_fma_f32 v28, 0x3f575c64, v1, -v25
	v_add_f32_e32 v12, v12, v18
	v_mul_f32_e32 v18, 0xbf4178ce, v0
	v_add_f32_e32 v31, v31, v43
	v_add_f32_e32 v21, v20, v21
	v_fmac_f32_e32 v25, 0x3f575c64, v1
	v_add_f32_e32 v20, v3, v19
	v_add_f32_e32 v19, v28, v26
	v_mul_f32_e32 v26, 0x3f68dda4, v0
	v_mul_f32_e32 v0, 0xbf7d64f0, v0
	v_add_f32_e32 v29, v33, v29
	v_fma_f32 v3, 0xbf27a4f4, v1, -v18
	v_add_f32_e32 v31, v25, v31
	v_fmac_f32_e32 v18, 0xbf27a4f4, v1
	v_fma_f32 v25, 0x3ed4b147, v1, -v26
	v_fma_f32 v28, 0xbe11bafb, v1, -v0
	v_fmac_f32_e32 v26, 0x3ed4b147, v1
	v_fmac_f32_e32 v0, 0xbe11bafb, v1
	v_add_f32_e32 v3, v3, v29
	v_add_f32_e32 v1, v18, v23
	v_add_f32_e32 v2, v25, v2
	v_add_f32_e32 v18, v28, v24
	v_add_f32_e32 v13, v26, v13
	v_add_f32_e32 v0, v0, v12
	s_waitcnt lgkmcnt(0)
	s_barrier
	buffer_gl0_inv
	ds_write2_b32 v39, v27, v21 offset1:1
	ds_write2_b32 v39, v19, v3 offset0:2 offset1:3
	ds_write2_b32 v39, v2, v18 offset0:4 offset1:5
	;; [unrolled: 1-line block ×4, first 2 shown]
	ds_write_b32 v39, v20 offset:40
	s_waitcnt lgkmcnt(0)
	s_barrier
	buffer_gl0_inv
	ds_read2_b32 v[2:3], v22 offset1:132
	ds_read2_b32 v[0:1], v40 offset0:8 offset1:228
	ds_read2_b32 v[12:13], v41 offset0:72 offset1:204
	;; [unrolled: 1-line block ×3, first 2 shown]
	ds_read_b32 v21, v22 offset:4928
                                        ; implicit-def: $vgpr24
	s_and_saveexec_b32 s1, s0
	s_cbranch_execz .LBB0_17
; %bb.16:
	ds_read_b32 v31, v22 offset:1584
	ds_read_b32 v20, v22 offset:3520
	;; [unrolled: 1-line block ×3, first 2 shown]
.LBB0_17:
	s_or_b32 exec_lo, exec_lo, s1
	v_add_nc_u32_e32 v23, 0x108, v34
	v_mov_b32_e32 v25, 0xba2f
	v_and_b32_e32 v32, 0xff, v34
	v_add_nc_u32_e32 v26, 0x18c, v34
	v_mov_b32_e32 v40, 4
	v_mov_b32_e32 v44, 0x84
	v_mul_u32_u24_sdwa v27, v23, v25 dst_sel:DWORD dst_unused:UNUSED_PAD src0_sel:WORD_0 src1_sel:DWORD
	v_mul_lo_u16 v28, 0x75, v32
	v_mul_u32_u24_sdwa v29, v26, v25 dst_sel:DWORD dst_unused:UNUSED_PAD src0_sel:WORD_0 src1_sel:DWORD
	v_lshrrev_b32_e32 v30, 19, v27
	v_lshrrev_b16 v27, 8, v28
	v_lshrrev_b32_e32 v28, 19, v29
	v_mul_lo_u16 v29, v30, 11
	v_sub_nc_u16 v33, v34, v27
	v_mul_lo_u16 v39, v28, 11
	v_mul_u32_u24_e32 v30, 0x84, v30
	v_sub_nc_u16 v29, v23, v29
	v_lshrrev_b16 v33, 1, v33
	v_sub_nc_u16 v39, v26, v39
	v_lshlrev_b32_sdwa v26, v40, v29 dst_sel:DWORD dst_unused:UNUSED_PAD src0_sel:DWORD src1_sel:WORD_0
	v_and_b32_e32 v33, 0x7f, v33
	v_lshlrev_b32_sdwa v41, v40, v39 dst_sel:DWORD dst_unused:UNUSED_PAD src0_sel:DWORD src1_sel:WORD_0
	global_load_dwordx4 v[47:50], v26, s[8:9]
	v_add_nc_u16 v27, v33, v27
	global_load_dwordx4 v[51:54], v41, s[8:9]
	v_add_nc_u32_e32 v26, 0x84, v34
	v_lshrrev_b16 v33, 3, v27
	v_mul_u32_u24_sdwa v25, v26, v25 dst_sel:DWORD dst_unused:UNUSED_PAD src0_sel:WORD_0 src1_sel:DWORD
	v_mul_lo_u16 v27, v33, 11
	v_lshrrev_b32_e32 v25, 19, v25
	v_sub_nc_u16 v43, v34, v27
	v_mul_lo_u16 v41, v25, 11
	v_mul_u32_u24_e32 v25, 0x84, v25
	v_lshlrev_b32_sdwa v27, v40, v43 dst_sel:DWORD dst_unused:UNUSED_PAD src0_sel:DWORD src1_sel:BYTE_0
	v_sub_nc_u16 v41, v26, v41
	v_lshlrev_b32_sdwa v40, v40, v41 dst_sel:DWORD dst_unused:UNUSED_PAD src0_sel:DWORD src1_sel:WORD_0
	s_clause 0x1
	global_load_dwordx4 v[55:58], v27, s[8:9]
	global_load_dwordx4 v[59:62], v40, s[8:9]
	v_mov_b32_e32 v27, 2
	v_mul_lo_u16 v40, v28, 33
	v_mul_u32_u24_sdwa v28, v33, v44 dst_sel:DWORD dst_unused:UNUSED_PAD src0_sel:WORD_0 src1_sel:DWORD
	s_waitcnt vmcnt(0) lgkmcnt(0)
	s_barrier
	v_lshlrev_b32_sdwa v41, v27, v41 dst_sel:DWORD dst_unused:UNUSED_PAD src0_sel:DWORD src1_sel:WORD_0
	v_lshlrev_b32_sdwa v29, v27, v29 dst_sel:DWORD dst_unused:UNUSED_PAD src0_sel:DWORD src1_sel:WORD_0
	buffer_gl0_inv
	v_add3_u32 v42, 0, v25, v41
	v_add3_u32 v41, 0, v30, v29
	v_lshlrev_b32_sdwa v29, v27, v43 dst_sel:DWORD dst_unused:UNUSED_PAD src0_sel:DWORD src1_sel:BYTE_0
	v_mul_f32_e32 v25, v19, v48
	v_mul_f32_e32 v43, v21, v50
	;; [unrolled: 1-line block ×6, first 2 shown]
	v_fmac_f32_e32 v25, v17, v47
	v_fmac_f32_e32 v43, v37, v49
	;; [unrolled: 1-line block ×4, first 2 shown]
	v_mul_f32_e32 v50, v36, v52
	v_fma_f32 v48, v19, v47, -v30
	v_fma_f32 v46, v21, v49, -v33
	v_add_f32_e32 v17, v25, v43
	v_add_f32_e32 v19, v4, v25
	;; [unrolled: 1-line block ×3, first 2 shown]
	v_fma_f32 v37, v20, v51, -v50
	v_sub_f32_e32 v20, v48, v46
	v_fmac_f32_e32 v4, -0.5, v17
	v_mul_f32_e32 v52, v38, v54
	v_add3_u32 v47, 0, v28, v29
	v_add_f32_e32 v33, v19, v43
	v_fma_f32 v28, -0.5, v21, v35
	v_fmamk_f32 v36, v20, 0xbf5db3d7, v4
	v_fmac_f32_e32 v4, 0x3f5db3d7, v20
	v_fma_f32 v38, v24, v53, -v52
	v_sub_f32_e32 v30, v37, v38
	v_mul_f32_e32 v19, v1, v56
	v_mul_f32_e32 v21, v12, v58
	;; [unrolled: 1-line block ×7, first 2 shown]
	v_fmac_f32_e32 v19, v5, v55
	v_fmac_f32_e32 v21, v14, v57
	v_mul_f32_e32 v50, v16, v60
	v_fmac_f32_e32 v17, v16, v59
	v_fmac_f32_e32 v20, v15, v61
	v_fma_f32 v29, v1, v55, -v24
	v_fma_f32 v1, v12, v57, -v49
	;; [unrolled: 1-line block ×3, first 2 shown]
	v_add_f32_e32 v13, v19, v21
	v_fma_f32 v12, v18, v59, -v50
	v_add_f32_e32 v15, v17, v20
	v_add_f32_e32 v14, v6, v19
	v_sub_f32_e32 v16, v29, v1
	v_add_f32_e32 v18, v7, v17
	v_fma_f32 v6, -0.5, v13, v6
	v_sub_f32_e32 v13, v12, v5
	v_fmac_f32_e32 v7, -0.5, v15
	v_add_f32_e32 v14, v14, v21
	v_add_f32_e32 v15, v18, v20
	v_fmamk_f32 v18, v16, 0xbf5db3d7, v6
	v_fmamk_f32 v24, v30, 0x3f5db3d7, v28
	v_fmac_f32_e32 v6, 0x3f5db3d7, v16
	v_fmamk_f32 v16, v13, 0xbf5db3d7, v7
	v_fmac_f32_e32 v7, 0x3f5db3d7, v13
	ds_write2_b32 v47, v14, v18 offset1:11
	ds_write_b32 v47, v6 offset:88
	ds_write2_b32 v42, v15, v16 offset1:11
	ds_write_b32 v42, v7 offset:88
	;; [unrolled: 2-line block ×3, first 2 shown]
	s_and_saveexec_b32 s1, s0
	s_cbranch_execz .LBB0_19
; %bb.18:
	v_mul_f32_e32 v4, 0x3f5db3d7, v30
	v_add_f32_e32 v6, v35, v44
	v_lshlrev_b32_sdwa v7, v27, v39 dst_sel:DWORD dst_unused:UNUSED_PAD src0_sel:DWORD src1_sel:WORD_0
	v_lshlrev_b32_sdwa v13, v27, v40 dst_sel:DWORD dst_unused:UNUSED_PAD src0_sel:DWORD src1_sel:WORD_0
	v_sub_f32_e32 v4, v28, v4
	v_add_f32_e32 v6, v6, v45
	v_add3_u32 v7, 0, v7, v13
	ds_write2_b32 v7, v6, v4 offset1:11
	ds_write_b32 v7, v24 offset:88
.LBB0_19:
	s_or_b32 exec_lo, exec_lo, s1
	v_add_f32_e32 v4, v29, v1
	v_add_nc_u32_e32 v35, 0x800, v22
	v_add_nc_u32_e32 v33, 0xc00, v22
	;; [unrolled: 1-line block ×3, first 2 shown]
	v_lshl_add_u32 v36, v34, 2, 0
	v_add_f32_e32 v6, v2, v29
	v_add_f32_e32 v7, v12, v5
	v_sub_f32_e32 v13, v19, v21
	v_fma_f32 v4, -0.5, v4, v2
	v_add_f32_e32 v2, v3, v12
	v_sub_f32_e32 v12, v17, v20
	s_waitcnt lgkmcnt(0)
	s_barrier
	buffer_gl0_inv
	ds_read2_b32 v[14:15], v22 offset1:132
	ds_read_b32 v29, v22 offset:1056
	ds_read2_b32 v[20:21], v35 offset0:16 offset1:148
	ds_read2_b32 v[18:19], v33 offset0:24 offset1:156
	;; [unrolled: 1-line block ×3, first 2 shown]
	ds_read_b32 v30, v36 offset:1584
	ds_read_b32 v27, v22 offset:5280
	v_add_f32_e32 v6, v6, v1
	v_add_f32_e32 v5, v2, v5
	;; [unrolled: 1-line block ×5, first 2 shown]
	v_sub_f32_e32 v25, v25, v43
	v_fmac_f32_e32 v3, -0.5, v7
	v_fmac_f32_e32 v0, -0.5, v1
	v_fma_f32 v1, -0.5, v2, v31
	v_sub_f32_e32 v2, v44, v45
	v_fmamk_f32 v7, v13, 0x3f5db3d7, v4
	v_fmac_f32_e32 v4, 0xbf5db3d7, v13
	v_fmamk_f32 v43, v25, 0x3f5db3d7, v0
	v_fmac_f32_e32 v0, 0xbf5db3d7, v25
	v_fmamk_f32 v25, v2, 0xbf5db3d7, v1
	v_fmamk_f32 v13, v12, 0x3f5db3d7, v3
	v_fmac_f32_e32 v3, 0xbf5db3d7, v12
	v_add_f32_e32 v12, v48, v46
	s_waitcnt lgkmcnt(0)
	s_barrier
	buffer_gl0_inv
	ds_write2_b32 v47, v6, v7 offset1:11
	ds_write_b32 v47, v4 offset:88
	ds_write2_b32 v42, v5, v13 offset1:11
	ds_write_b32 v42, v3 offset:88
	;; [unrolled: 2-line block ×3, first 2 shown]
	s_and_saveexec_b32 s1, s0
	s_cbranch_execz .LBB0_21
; %bb.20:
	v_mov_b32_e32 v0, 2
	v_mul_f32_e32 v2, 0x3f5db3d7, v2
	v_add_f32_e32 v3, v31, v37
	v_lshlrev_b32_sdwa v4, v0, v39 dst_sel:DWORD dst_unused:UNUSED_PAD src0_sel:DWORD src1_sel:WORD_0
	v_lshlrev_b32_sdwa v0, v0, v40 dst_sel:DWORD dst_unused:UNUSED_PAD src0_sel:DWORD src1_sel:WORD_0
	v_add_f32_e32 v3, v3, v38
	v_add_f32_e32 v1, v2, v1
	v_add3_u32 v0, 0, v4, v0
	ds_write2_b32 v0, v3, v1 offset1:11
	ds_write_b32 v0, v25 offset:88
.LBB0_21:
	s_or_b32 exec_lo, exec_lo, s1
	v_mul_lo_u16 v0, 0xf9, v32
	v_mov_b32_e32 v1, 10
	s_waitcnt lgkmcnt(0)
	s_barrier
	buffer_gl0_inv
	v_lshrrev_b16 v31, 13, v0
	v_mov_b32_e32 v37, 0x5ac
	v_mov_b32_e32 v38, 2
	v_cmp_gt_u32_e64 s0, 0x63, v34
	v_mul_lo_u16 v0, v31, 33
	v_sub_nc_u16 v32, v34, v0
	v_mul_u32_u24_sdwa v0, v32, v1 dst_sel:DWORD dst_unused:UNUSED_PAD src0_sel:BYTE_0 src1_sel:DWORD
	v_lshlrev_b32_sdwa v32, v38, v32 dst_sel:DWORD dst_unused:UNUSED_PAD src0_sel:DWORD src1_sel:BYTE_0
	v_lshlrev_b32_e32 v12, 3, v0
	s_clause 0x4
	global_load_dwordx4 v[47:50], v12, s[8:9] offset:176
	global_load_dwordx4 v[51:54], v12, s[8:9] offset:192
	;; [unrolled: 1-line block ×5, first 2 shown]
	ds_read2_b32 v[12:13], v22 offset1:132
	ds_read_b32 v44, v22 offset:1056
	ds_read_b32 v65, v36 offset:1584
	ds_read2_b32 v[59:60], v35 offset0:16 offset1:148
	ds_read2_b32 v[61:62], v33 offset0:24 offset1:156
	;; [unrolled: 1-line block ×3, first 2 shown]
	ds_read_b32 v66, v22 offset:5280
	v_mul_u32_u24_sdwa v35, v31, v37 dst_sel:DWORD dst_unused:UNUSED_PAD src0_sel:WORD_0 src1_sel:DWORD
	v_add_nc_u32_e32 v31, 0x400, v22
	s_waitcnt vmcnt(0) lgkmcnt(0)
	s_barrier
	buffer_gl0_inv
	v_add3_u32 v33, 0, v35, v32
	v_add_nc_u32_e32 v32, 0xa00, v22
	v_add_nc_u32_e32 v35, 0x400, v33
	v_mul_f32_e32 v45, v13, v48
	v_mul_f32_e32 v42, v44, v50
	;; [unrolled: 1-line block ×5, first 2 shown]
	v_fmac_f32_e32 v45, v15, v47
	v_mul_f32_e32 v48, v15, v48
	v_mul_f32_e32 v46, v66, v58
	;; [unrolled: 1-line block ×5, first 2 shown]
	v_fmac_f32_e32 v42, v29, v49
	v_fmac_f32_e32 v37, v18, v6
	v_fmac_f32_e32 v39, v19, v0
	v_fma_f32 v18, v62, v0, -v1
	v_add_f32_e32 v0, v14, v45
	v_mul_f32_e32 v50, v29, v50
	v_mul_f32_e32 v52, v30, v52
	;; [unrolled: 1-line block ×10, first 2 shown]
	v_fma_f32 v47, v13, v47, -v48
	v_fma_f32 v19, v66, v57, -v58
	v_fmac_f32_e32 v40, v30, v51
	v_add_f32_e32 v0, v0, v42
	v_fma_f32 v44, v44, v49, -v50
	v_fma_f32 v30, v65, v51, -v52
	;; [unrolled: 1-line block ×5, first 2 shown]
	v_fmac_f32_e32 v41, v16, v2
	v_fma_f32 v16, v63, v2, -v3
	v_fmac_f32_e32 v46, v27, v57
	v_fmac_f32_e32 v43, v17, v55
	v_fma_f32 v17, v64, v55, -v56
	v_sub_f32_e32 v2, v47, v19
	v_fmac_f32_e32 v38, v20, v53
	v_add_f32_e32 v0, v0, v40
	v_fmac_f32_e32 v36, v21, v4
	v_add_f32_e32 v1, v45, v46
	v_sub_f32_e32 v4, v44, v17
	v_sub_f32_e32 v6, v30, v16
	;; [unrolled: 1-line block ×4, first 2 shown]
	v_mul_f32_e32 v48, 0xbf0a6770, v2
	v_mul_f32_e32 v49, 0xbf68dda4, v2
	v_mul_f32_e32 v50, 0xbf7d64f0, v2
	v_mul_f32_e32 v51, 0xbf4178ce, v2
	v_mul_f32_e32 v2, 0xbe903f40, v2
	v_add_f32_e32 v0, v0, v38
	v_add_f32_e32 v3, v42, v43
	v_add_f32_e32 v5, v40, v41
	v_add_f32_e32 v20, v38, v39
	v_add_f32_e32 v27, v36, v37
	v_mul_f32_e32 v52, 0xbf68dda4, v4
	v_mul_f32_e32 v53, 0xbf4178ce, v4
	;; [unrolled: 1-line block ×20, first 2 shown]
	v_fmamk_f32 v68, v1, 0x3f575c64, v48
	v_fma_f32 v48, 0x3f575c64, v1, -v48
	v_fmamk_f32 v69, v1, 0x3ed4b147, v49
	v_fma_f32 v49, 0x3ed4b147, v1, -v49
	v_fmamk_f32 v70, v1, 0xbe11bafb, v50
	v_fma_f32 v50, 0xbe11bafb, v1, -v50
	v_fmamk_f32 v71, v1, 0xbf27a4f4, v51
	v_fmamk_f32 v72, v1, 0xbf75a155, v2
	v_fma_f32 v51, 0xbf27a4f4, v1, -v51
	v_fma_f32 v1, 0xbf75a155, v1, -v2
	v_add_f32_e32 v0, v0, v36
	v_fmamk_f32 v2, v3, 0x3ed4b147, v52
	v_fma_f32 v52, 0x3ed4b147, v3, -v52
	v_fmamk_f32 v73, v3, 0xbf27a4f4, v53
	v_fma_f32 v53, 0xbf27a4f4, v3, -v53
	;; [unrolled: 2-line block ×20, first 2 shown]
	v_add_f32_e32 v21, v14, v68
	v_add_f32_e32 v27, v14, v48
	;; [unrolled: 1-line block ×55, first 2 shown]
	ds_write2_b32 v33, v3, v4 offset0:66 offset1:99
	ds_write2_b32 v33, v5, v7 offset0:132 offset1:165
	;; [unrolled: 1-line block ×4, first 2 shown]
	ds_write_b32 v33, v21 offset:1320
	ds_write2_b32 v33, v0, v2 offset1:33
	s_waitcnt lgkmcnt(0)
	s_barrier
	buffer_gl0_inv
	ds_read2_b32 v[0:1], v22 offset1:132
	ds_read2_b32 v[4:5], v31 offset0:107 offset1:239
	ds_read2_b32 v[2:3], v32 offset0:86 offset1:218
	ds_read2_b32 v[6:7], v28 offset0:65 offset1:197
	s_and_saveexec_b32 s1, s0
	s_cbranch_execz .LBB0_23
; %bb.22:
	ds_read_b32 v20, v22 offset:1056
	ds_read_b32 v27, v22 offset:2508
	;; [unrolled: 1-line block ×4, first 2 shown]
.LBB0_23:
	s_or_b32 exec_lo, exec_lo, s1
	v_add_f32_e32 v14, v12, v47
	v_add_f32_e32 v28, v47, v19
	v_sub_f32_e32 v45, v45, v46
	v_add_f32_e32 v46, v44, v17
	v_sub_f32_e32 v42, v42, v43
	v_add_f32_e32 v14, v14, v44
	v_mul_f32_e32 v43, 0x3f575c64, v28
	v_mul_f32_e32 v44, 0x3ed4b147, v28
	;; [unrolled: 1-line block ×4, first 2 shown]
	v_add_f32_e32 v14, v14, v30
	v_mul_f32_e32 v28, 0xbf75a155, v28
	v_mul_f32_e32 v49, 0x3ed4b147, v46
	v_fmamk_f32 v52, v45, 0x3f0a6770, v43
	v_fmac_f32_e32 v43, 0xbf0a6770, v45
	v_add_f32_e32 v14, v14, v29
	v_mul_f32_e32 v50, 0xbf27a4f4, v46
	v_fmamk_f32 v53, v45, 0x3f68dda4, v44
	v_fmac_f32_e32 v44, 0xbf68dda4, v45
	v_fmamk_f32 v54, v45, 0x3f7d64f0, v47
	v_add_f32_e32 v14, v14, v13
	v_fmac_f32_e32 v47, 0xbf7d64f0, v45
	v_fmamk_f32 v55, v45, 0x3f4178ce, v48
	v_fmac_f32_e32 v48, 0xbf4178ce, v45
	v_fmamk_f32 v56, v45, 0x3e903f40, v28
	v_add_f32_e32 v14, v14, v15
	v_fmac_f32_e32 v28, 0xbe903f40, v45
	v_fmamk_f32 v45, v42, 0x3f68dda4, v49
	v_fmac_f32_e32 v49, 0xbf68dda4, v42
	v_add_f32_e32 v43, v12, v43
	v_add_f32_e32 v14, v14, v18
	v_mul_f32_e32 v51, 0xbf75a155, v46
	v_fmamk_f32 v57, v42, 0x3f4178ce, v50
	v_add_f32_e32 v44, v12, v44
	v_fmac_f32_e32 v50, 0xbf4178ce, v42
	v_add_f32_e32 v14, v14, v16
	v_add_f32_e32 v16, v30, v16
	;; [unrolled: 1-line block ×3, first 2 shown]
	v_sub_f32_e32 v40, v40, v41
	v_add_f32_e32 v44, v50, v44
	v_add_f32_e32 v14, v14, v17
	;; [unrolled: 1-line block ×4, first 2 shown]
	v_mul_f32_e32 v41, 0xbe11bafb, v16
	v_add_f32_e32 v53, v12, v53
	v_add_f32_e32 v14, v14, v19
	;; [unrolled: 1-line block ×3, first 2 shown]
	v_mul_f32_e32 v49, 0xbe11bafb, v46
	v_mul_f32_e32 v46, 0x3f575c64, v46
	v_add_f32_e32 v54, v12, v54
	v_add_f32_e32 v47, v12, v47
	;; [unrolled: 1-line block ×3, first 2 shown]
	v_fmamk_f32 v30, v42, 0xbf7d64f0, v49
	v_fmac_f32_e32 v49, 0x3f7d64f0, v42
	v_fmamk_f32 v50, v42, 0xbf0a6770, v46
	v_add_f32_e32 v12, v12, v28
	v_add_f32_e32 v28, v45, v52
	v_fmamk_f32 v43, v42, 0xbe903f40, v51
	v_fmac_f32_e32 v51, 0x3e903f40, v42
	v_fmac_f32_e32 v46, 0x3f0a6770, v42
	v_add_f32_e32 v17, v49, v17
	v_add_f32_e32 v42, v50, v48
	v_fmamk_f32 v48, v40, 0x3f7d64f0, v41
	v_mul_f32_e32 v49, 0xbf75a155, v16
	v_add_f32_e32 v45, v57, v53
	v_add_f32_e32 v12, v46, v12
	v_fmac_f32_e32 v41, 0xbf7d64f0, v40
	v_mul_f32_e32 v46, 0x3ed4b147, v16
	v_add_f32_e32 v28, v48, v28
	v_fmamk_f32 v48, v40, 0xbe903f40, v49
	v_add_f32_e32 v43, v43, v54
	v_add_f32_e32 v47, v51, v47
	;; [unrolled: 1-line block ×3, first 2 shown]
	v_fmamk_f32 v41, v40, 0xbf68dda4, v46
	v_fmac_f32_e32 v46, 0x3f68dda4, v40
	v_add_f32_e32 v45, v48, v45
	v_mul_f32_e32 v48, 0x3f575c64, v16
	v_add_f32_e32 v18, v29, v18
	v_mul_f32_e32 v16, 0xbf27a4f4, v16
	v_add_f32_e32 v30, v30, v55
	v_add_f32_e32 v41, v41, v43
	;; [unrolled: 1-line block ×3, first 2 shown]
	v_fmamk_f32 v29, v40, 0x3f0a6770, v48
	v_sub_f32_e32 v38, v38, v39
	v_mul_f32_e32 v39, 0xbf27a4f4, v18
	v_fmamk_f32 v46, v40, 0x3f4178ce, v16
	v_fmac_f32_e32 v49, 0x3e903f40, v40
	v_fmac_f32_e32 v48, 0xbf0a6770, v40
	v_add_f32_e32 v29, v29, v30
	v_fmac_f32_e32 v16, 0xbf4178ce, v40
	v_fmamk_f32 v30, v38, 0x3f4178ce, v39
	v_add_f32_e32 v40, v46, v42
	v_mul_f32_e32 v42, 0xbe11bafb, v18
	v_fmac_f32_e32 v39, 0xbf4178ce, v38
	v_add_f32_e32 v44, v49, v44
	v_add_f32_e32 v12, v16, v12
	;; [unrolled: 1-line block ×3, first 2 shown]
	v_mul_f32_e32 v28, 0x3f575c64, v18
	v_fmamk_f32 v30, v38, 0xbf7d64f0, v42
	v_add_f32_e32 v19, v39, v19
	v_fmac_f32_e32 v42, 0x3f7d64f0, v38
	v_mul_f32_e32 v39, 0xbf75a155, v18
	v_fmamk_f32 v46, v38, 0x3f0a6770, v28
	v_fmac_f32_e32 v28, 0xbf0a6770, v38
	v_mul_f32_e32 v18, 0x3ed4b147, v18
	v_add_f32_e32 v42, v42, v44
	v_fmamk_f32 v44, v38, 0x3e903f40, v39
	v_add_f32_e32 v13, v13, v15
	v_add_f32_e32 v17, v48, v17
	;; [unrolled: 1-line block ×3, first 2 shown]
	v_fmac_f32_e32 v39, 0xbe903f40, v38
	v_add_f32_e32 v15, v44, v29
	v_fmamk_f32 v28, v38, 0xbf68dda4, v18
	v_sub_f32_e32 v29, v36, v37
	v_mul_f32_e32 v36, 0xbf75a155, v13
	v_fmac_f32_e32 v18, 0x3f68dda4, v38
	v_mul_f32_e32 v38, 0x3f575c64, v13
	v_add_f32_e32 v30, v30, v45
	v_add_f32_e32 v17, v39, v17
	;; [unrolled: 1-line block ×3, first 2 shown]
	v_fmamk_f32 v28, v29, 0x3e903f40, v36
	v_fmac_f32_e32 v36, 0xbe903f40, v29
	v_fmamk_f32 v39, v29, 0xbf0a6770, v38
	v_add_f32_e32 v12, v18, v12
	v_mul_f32_e32 v18, 0xbf27a4f4, v13
	v_add_f32_e32 v16, v28, v16
	v_fmac_f32_e32 v38, 0x3f0a6770, v29
	v_add_f32_e32 v28, v36, v19
	v_add_f32_e32 v36, v39, v30
	v_mul_f32_e32 v39, 0x3ed4b147, v13
	v_mul_f32_e32 v13, 0xbe11bafb, v13
	v_add_f32_e32 v41, v46, v41
	v_fmamk_f32 v19, v29, 0x3f4178ce, v18
	v_add_f32_e32 v30, v38, v42
	v_fmac_f32_e32 v18, 0xbf4178ce, v29
	v_fmamk_f32 v38, v29, 0xbf68dda4, v39
	v_fmamk_f32 v40, v29, 0x3f7d64f0, v13
	v_fmac_f32_e32 v39, 0x3f68dda4, v29
	v_fmac_f32_e32 v13, 0xbf7d64f0, v29
	v_add_f32_e32 v19, v19, v41
	v_add_f32_e32 v29, v18, v43
	;; [unrolled: 1-line block ×6, first 2 shown]
	s_waitcnt lgkmcnt(0)
	s_barrier
	buffer_gl0_inv
	ds_write2_b32 v33, v14, v16 offset1:33
	ds_write2_b32 v33, v36, v19 offset0:66 offset1:99
	ds_write2_b32 v33, v15, v18 offset0:132 offset1:165
	;; [unrolled: 1-line block ×4, first 2 shown]
	ds_write_b32 v33, v28 offset:1320
	v_add_nc_u32_e32 v16, 0x1000, v22
	s_waitcnt lgkmcnt(0)
	s_barrier
	buffer_gl0_inv
	ds_read2_b32 v[12:13], v22 offset1:132
	ds_read2_b32 v[14:15], v31 offset0:107 offset1:239
	ds_read2_b32 v[18:19], v32 offset0:86 offset1:218
	;; [unrolled: 1-line block ×3, first 2 shown]
	s_and_saveexec_b32 s1, s0
	s_cbranch_execz .LBB0_25
; %bb.24:
	ds_read_b32 v29, v22 offset:1056
	ds_read_b32 v30, v22 offset:2508
	;; [unrolled: 1-line block ×4, first 2 shown]
.LBB0_25:
	s_or_b32 exec_lo, exec_lo, s1
	s_and_saveexec_b32 s1, vcc_lo
	s_cbranch_execz .LBB0_28
; %bb.26:
	v_mul_u32_u24_e32 v22, 3, v26
	v_mul_u32_u24_e32 v26, 3, v34
	v_mul_lo_u32 v47, s3, v10
	v_mul_lo_u32 v11, s2, v11
	v_mad_u64_u32 v[45:46], null, s2, v10, 0
	v_lshlrev_b32_e32 v22, 3, v22
	v_lshlrev_b32_e32 v26, 3, v26
	v_lshlrev_b64 v[8:9], 3, v[8:9]
	v_mov_b32_e32 v10, 0
	v_add_co_u32 v22, s1, s8, v22
	v_add_co_ci_u32_e64 v33, null, s9, 0, s1
	v_add3_u32 v46, v46, v11, v47
	v_add_co_u32 v31, vcc_lo, 0xb00, v22
	v_add_co_ci_u32_e32 v32, vcc_lo, 0, v33, vcc_lo
	v_add_co_u32 v35, vcc_lo, 0x800, v22
	v_add_co_u32 v22, s1, s8, v26
	v_add_co_ci_u32_e64 v26, null, s9, 0, s1
	v_add_co_ci_u32_e32 v36, vcc_lo, 0, v33, vcc_lo
	v_add_co_u32 v39, vcc_lo, 0x800, v22
	v_add_co_ci_u32_e32 v40, vcc_lo, 0, v26, vcc_lo
	v_add_co_u32 v43, vcc_lo, 0xb00, v22
	v_add_co_ci_u32_e32 v44, vcc_lo, 0, v26, vcc_lo
	s_clause 0x3
	global_load_dwordx4 v[35:38], v[35:36], off offset:768
	global_load_dwordx2 v[31:32], v[31:32], off offset:16
	global_load_dwordx4 v[39:42], v[39:40], off offset:768
	global_load_dwordx2 v[43:44], v[43:44], off offset:16
	v_mul_hi_u32 v22, 0x691473a9, v34
	v_add_nc_u32_e32 v26, 0x84, v34
	v_lshlrev_b64 v[45:46], 3, v[45:46]
	v_mov_b32_e32 v47, v10
	v_add_nc_u32_e32 v11, 0x108, v34
	v_mul_hi_u32 v48, 0x691473a9, v26
	v_sub_nc_u32_e32 v33, v34, v22
	v_add_co_u32 v45, s1, s14, v45
	v_add_co_ci_u32_e64 v46, s1, s15, v46, s1
	v_lshrrev_b32_e32 v33, 1, v33
	v_sub_nc_u32_e32 v49, v26, v48
	v_add_co_u32 v8, s1, v45, v8
	v_cmp_gt_u32_e32 vcc_lo, 0x16b, v11
	v_add_nc_u32_e32 v22, v33, v22
	v_lshrrev_b32_e32 v33, 1, v49
	v_mov_b32_e32 v49, v10
	v_lshrrev_b32_e32 v22, 8, v22
	v_add_nc_u32_e32 v33, v33, v48
	v_mul_u32_u24_e32 v22, 0x16b, v22
	v_lshrrev_b32_e32 v33, 8, v33
	v_sub_nc_u32_e32 v22, v34, v22
	v_mul_u32_u24_e32 v48, 0x16b, v33
	v_lshlrev_b32_e32 v50, 3, v22
	v_add_co_ci_u32_e64 v22, s1, v46, v9, s1
	v_sub_nc_u32_e32 v9, v26, v48
	v_add_co_u32 v50, s1, v8, v50
	v_add_co_ci_u32_e64 v51, s1, 0, v22, s1
	v_mad_u32_u24 v9, 0x5ac, v33, v9
	v_add_co_u32 v52, s1, 0x800, v50
	v_add_co_ci_u32_e64 v53, s1, 0, v51, s1
	v_lshlrev_b64 v[56:57], 3, v[9:10]
	v_add_nc_u32_e32 v46, 0x16b, v9
	v_add_nc_u32_e32 v48, 0x2d6, v9
	;; [unrolled: 1-line block ×3, first 2 shown]
	v_add_co_u32 v54, s1, 0x1000, v50
	v_lshlrev_b64 v[45:46], 3, v[46:47]
	v_lshlrev_b64 v[47:48], 3, v[48:49]
	;; [unrolled: 1-line block ×3, first 2 shown]
	v_add_co_ci_u32_e64 v55, s1, 0, v51, s1
	v_add_co_u32 v58, s1, 0x2000, v50
	v_add_co_ci_u32_e64 v59, s1, 0, v51, s1
	v_add_co_u32 v56, s1, v8, v56
	v_add_co_ci_u32_e64 v57, s1, v22, v57, s1
	v_add_co_u32 v45, s1, v8, v45
	v_add_co_ci_u32_e64 v46, s1, v22, v46, s1
	v_add_co_u32 v47, s1, v8, v47
	v_add_co_ci_u32_e64 v48, s1, v22, v48, s1
	v_add_co_u32 v60, s1, v8, v60
	v_add_co_ci_u32_e64 v61, s1, v22, v61, s1
	s_waitcnt vmcnt(3)
	v_mul_f32_e32 v9, v3, v38
	v_mul_f32_e32 v26, v5, v35
	s_waitcnt vmcnt(2)
	v_mul_f32_e32 v33, v7, v31
	s_waitcnt lgkmcnt(1)
	v_mul_f32_e32 v38, v19, v38
	v_mul_f32_e32 v5, v5, v36
	;; [unrolled: 1-line block ×3, first 2 shown]
	s_waitcnt vmcnt(1)
	v_mul_f32_e32 v49, v2, v42
	v_mul_f32_e32 v62, v4, v39
	s_waitcnt vmcnt(0)
	v_mul_f32_e32 v63, v6, v43
	v_mul_f32_e32 v42, v18, v42
	;; [unrolled: 1-line block ×4, first 2 shown]
	v_fma_f32 v9, v19, v37, -v9
	v_fmac_f32_e32 v26, v15, v36
	s_waitcnt lgkmcnt(0)
	v_fmac_f32_e32 v33, v17, v32
	v_fmac_f32_e32 v38, v3, v37
	v_fma_f32 v5, v15, v35, -v5
	v_fma_f32 v3, v17, v31, -v7
	;; [unrolled: 1-line block ×3, first 2 shown]
	v_fmac_f32_e32 v62, v14, v40
	v_fmac_f32_e32 v63, v16, v44
	;; [unrolled: 1-line block ×3, first 2 shown]
	v_fma_f32 v14, v14, v39, -v4
	v_fma_f32 v2, v16, v43, -v6
	v_sub_f32_e32 v6, v13, v9
	v_sub_f32_e32 v4, v26, v33
	;; [unrolled: 1-line block ×9, first 2 shown]
	v_add_f32_e32 v2, v9, v15
	v_fma_f32 v19, v13, 2.0, -v6
	v_fma_f32 v13, v5, 2.0, -v15
	;; [unrolled: 1-line block ×3, first 2 shown]
	v_add_f32_e32 v4, v17, v18
	v_fma_f32 v26, v12, 2.0, -v16
	v_fma_f32 v12, v14, 2.0, -v18
	;; [unrolled: 1-line block ×5, first 2 shown]
	v_sub_f32_e32 v5, v16, v7
	v_sub_f32_e32 v7, v19, v13
	;; [unrolled: 1-line block ×4, first 2 shown]
	v_fma_f32 v1, v6, 2.0, -v3
	v_sub_f32_e32 v6, v31, v15
	v_fma_f32 v15, v16, 2.0, -v5
	v_fma_f32 v14, v17, 2.0, -v4
	;; [unrolled: 1-line block ×7, first 2 shown]
	global_store_dwordx2 v[58:59], v[4:5], off offset:520
	global_store_dwordx2 v[52:53], v[14:15], off offset:856
	;; [unrolled: 1-line block ×3, first 2 shown]
	global_store_dwordx2 v[50:51], v[18:19], off
	global_store_dwordx2 v[56:57], v[16:17], off
	global_store_dwordx2 v[45:46], v[0:1], off
	global_store_dwordx2 v[47:48], v[6:7], off
	global_store_dwordx2 v[60:61], v[2:3], off
	s_and_b32 exec_lo, exec_lo, vcc_lo
	s_cbranch_execz .LBB0_28
; %bb.27:
	v_add_nc_u32_e32 v0, 0xffffff9d, v34
	v_mov_b32_e32 v12, v10
	v_cndmask_b32_e64 v0, v0, v23, s0
	v_lshlrev_b64 v[6:7], 3, v[11:12]
	v_mul_i32_i24_e32 v9, 3, v0
	v_lshlrev_b64 v[0:1], 3, v[9:10]
	v_add_nc_u32_e32 v9, 0x273, v34
	v_lshlrev_b64 v[11:12], 3, v[9:10]
	v_add_co_u32 v2, vcc_lo, s8, v0
	v_add_co_ci_u32_e32 v3, vcc_lo, s9, v1, vcc_lo
	v_add_nc_u32_e32 v9, 0x3de, v34
	v_add_co_u32 v0, vcc_lo, 0x800, v2
	v_add_co_ci_u32_e32 v1, vcc_lo, 0, v3, vcc_lo
	v_add_co_u32 v4, vcc_lo, 0xb00, v2
	v_add_co_ci_u32_e32 v5, vcc_lo, 0, v3, vcc_lo
	s_clause 0x1
	global_load_dwordx4 v[0:3], v[0:1], off offset:768
	global_load_dwordx2 v[4:5], v[4:5], off offset:16
	v_add_co_u32 v6, vcc_lo, v8, v6
	v_add_co_ci_u32_e32 v7, vcc_lo, v22, v7, vcc_lo
	v_lshlrev_b64 v[13:14], 3, v[9:10]
	v_add_nc_u32_e32 v9, 0x549, v34
	s_waitcnt vmcnt(1)
	v_mul_f32_e32 v15, v30, v1
	v_mul_f32_e32 v1, v27, v1
	;; [unrolled: 1-line block ×4, first 2 shown]
	s_waitcnt vmcnt(0)
	v_mul_f32_e32 v17, v25, v5
	v_mul_f32_e32 v5, v24, v5
	v_fmac_f32_e32 v15, v27, v0
	v_fma_f32 v18, v30, v0, -v1
	v_fmac_f32_e32 v16, v21, v2
	v_fma_f32 v0, v28, v2, -v3
	;; [unrolled: 2-line block ×3, first 2 shown]
	v_lshlrev_b64 v[2:3], 3, v[9:10]
	v_sub_f32_e32 v16, v20, v16
	v_sub_f32_e32 v19, v29, v0
	;; [unrolled: 1-line block ×4, first 2 shown]
	v_add_co_u32 v0, vcc_lo, v8, v11
	v_add_co_ci_u32_e32 v1, vcc_lo, v22, v12, vcc_lo
	v_fma_f32 v17, v20, 2.0, -v16
	v_fma_f32 v20, v29, 2.0, -v19
	;; [unrolled: 1-line block ×4, first 2 shown]
	v_add_f32_e32 v4, v16, v4
	v_sub_f32_e32 v5, v19, v5
	v_sub_f32_e32 v9, v17, v11
	;; [unrolled: 1-line block ×3, first 2 shown]
	v_add_co_u32 v11, vcc_lo, v8, v13
	v_add_co_ci_u32_e32 v12, vcc_lo, v22, v14, vcc_lo
	v_fma_f32 v13, v16, 2.0, -v4
	v_fma_f32 v14, v19, 2.0, -v5
	v_add_co_u32 v2, vcc_lo, v8, v2
	v_fma_f32 v15, v17, 2.0, -v9
	v_fma_f32 v16, v20, 2.0, -v10
	v_add_co_ci_u32_e32 v3, vcc_lo, v22, v3, vcc_lo
	global_store_dwordx2 v[0:1], v[13:14], off
	global_store_dwordx2 v[11:12], v[9:10], off
	;; [unrolled: 1-line block ×4, first 2 shown]
.LBB0_28:
	s_endpgm
	.section	.rodata,"a",@progbits
	.p2align	6, 0x0
	.amdhsa_kernel fft_rtc_back_len1452_factors_11_3_11_4_wgs_132_tpt_132_halfLds_sp_op_CI_CI_unitstride_sbrr_dirReg
		.amdhsa_group_segment_fixed_size 0
		.amdhsa_private_segment_fixed_size 0
		.amdhsa_kernarg_size 104
		.amdhsa_user_sgpr_count 6
		.amdhsa_user_sgpr_private_segment_buffer 1
		.amdhsa_user_sgpr_dispatch_ptr 0
		.amdhsa_user_sgpr_queue_ptr 0
		.amdhsa_user_sgpr_kernarg_segment_ptr 1
		.amdhsa_user_sgpr_dispatch_id 0
		.amdhsa_user_sgpr_flat_scratch_init 0
		.amdhsa_user_sgpr_private_segment_size 0
		.amdhsa_wavefront_size32 1
		.amdhsa_uses_dynamic_stack 0
		.amdhsa_system_sgpr_private_segment_wavefront_offset 0
		.amdhsa_system_sgpr_workgroup_id_x 1
		.amdhsa_system_sgpr_workgroup_id_y 0
		.amdhsa_system_sgpr_workgroup_id_z 0
		.amdhsa_system_sgpr_workgroup_info 0
		.amdhsa_system_vgpr_workitem_id 0
		.amdhsa_next_free_vgpr 90
		.amdhsa_next_free_sgpr 27
		.amdhsa_reserve_vcc 1
		.amdhsa_reserve_flat_scratch 0
		.amdhsa_float_round_mode_32 0
		.amdhsa_float_round_mode_16_64 0
		.amdhsa_float_denorm_mode_32 3
		.amdhsa_float_denorm_mode_16_64 3
		.amdhsa_dx10_clamp 1
		.amdhsa_ieee_mode 1
		.amdhsa_fp16_overflow 0
		.amdhsa_workgroup_processor_mode 1
		.amdhsa_memory_ordered 1
		.amdhsa_forward_progress 0
		.amdhsa_shared_vgpr_count 0
		.amdhsa_exception_fp_ieee_invalid_op 0
		.amdhsa_exception_fp_denorm_src 0
		.amdhsa_exception_fp_ieee_div_zero 0
		.amdhsa_exception_fp_ieee_overflow 0
		.amdhsa_exception_fp_ieee_underflow 0
		.amdhsa_exception_fp_ieee_inexact 0
		.amdhsa_exception_int_div_zero 0
	.end_amdhsa_kernel
	.text
.Lfunc_end0:
	.size	fft_rtc_back_len1452_factors_11_3_11_4_wgs_132_tpt_132_halfLds_sp_op_CI_CI_unitstride_sbrr_dirReg, .Lfunc_end0-fft_rtc_back_len1452_factors_11_3_11_4_wgs_132_tpt_132_halfLds_sp_op_CI_CI_unitstride_sbrr_dirReg
                                        ; -- End function
	.section	.AMDGPU.csdata,"",@progbits
; Kernel info:
; codeLenInByte = 9024
; NumSgprs: 29
; NumVgprs: 90
; ScratchSize: 0
; MemoryBound: 0
; FloatMode: 240
; IeeeMode: 1
; LDSByteSize: 0 bytes/workgroup (compile time only)
; SGPRBlocks: 3
; VGPRBlocks: 11
; NumSGPRsForWavesPerEU: 29
; NumVGPRsForWavesPerEU: 90
; Occupancy: 10
; WaveLimiterHint : 1
; COMPUTE_PGM_RSRC2:SCRATCH_EN: 0
; COMPUTE_PGM_RSRC2:USER_SGPR: 6
; COMPUTE_PGM_RSRC2:TRAP_HANDLER: 0
; COMPUTE_PGM_RSRC2:TGID_X_EN: 1
; COMPUTE_PGM_RSRC2:TGID_Y_EN: 0
; COMPUTE_PGM_RSRC2:TGID_Z_EN: 0
; COMPUTE_PGM_RSRC2:TIDIG_COMP_CNT: 0
	.text
	.p2alignl 6, 3214868480
	.fill 48, 4, 3214868480
	.type	__hip_cuid_2f15cf6e4facb755,@object ; @__hip_cuid_2f15cf6e4facb755
	.section	.bss,"aw",@nobits
	.globl	__hip_cuid_2f15cf6e4facb755
__hip_cuid_2f15cf6e4facb755:
	.byte	0                               ; 0x0
	.size	__hip_cuid_2f15cf6e4facb755, 1

	.ident	"AMD clang version 19.0.0git (https://github.com/RadeonOpenCompute/llvm-project roc-6.4.0 25133 c7fe45cf4b819c5991fe208aaa96edf142730f1d)"
	.section	".note.GNU-stack","",@progbits
	.addrsig
	.addrsig_sym __hip_cuid_2f15cf6e4facb755
	.amdgpu_metadata
---
amdhsa.kernels:
  - .args:
      - .actual_access:  read_only
        .address_space:  global
        .offset:         0
        .size:           8
        .value_kind:     global_buffer
      - .offset:         8
        .size:           8
        .value_kind:     by_value
      - .actual_access:  read_only
        .address_space:  global
        .offset:         16
        .size:           8
        .value_kind:     global_buffer
      - .actual_access:  read_only
        .address_space:  global
        .offset:         24
        .size:           8
        .value_kind:     global_buffer
      - .actual_access:  read_only
        .address_space:  global
        .offset:         32
        .size:           8
        .value_kind:     global_buffer
      - .offset:         40
        .size:           8
        .value_kind:     by_value
      - .actual_access:  read_only
        .address_space:  global
        .offset:         48
        .size:           8
        .value_kind:     global_buffer
      - .actual_access:  read_only
        .address_space:  global
        .offset:         56
        .size:           8
        .value_kind:     global_buffer
      - .offset:         64
        .size:           4
        .value_kind:     by_value
      - .actual_access:  read_only
        .address_space:  global
        .offset:         72
        .size:           8
        .value_kind:     global_buffer
      - .actual_access:  read_only
        .address_space:  global
        .offset:         80
        .size:           8
        .value_kind:     global_buffer
      - .actual_access:  read_only
        .address_space:  global
        .offset:         88
        .size:           8
        .value_kind:     global_buffer
      - .actual_access:  write_only
        .address_space:  global
        .offset:         96
        .size:           8
        .value_kind:     global_buffer
    .group_segment_fixed_size: 0
    .kernarg_segment_align: 8
    .kernarg_segment_size: 104
    .language:       OpenCL C
    .language_version:
      - 2
      - 0
    .max_flat_workgroup_size: 132
    .name:           fft_rtc_back_len1452_factors_11_3_11_4_wgs_132_tpt_132_halfLds_sp_op_CI_CI_unitstride_sbrr_dirReg
    .private_segment_fixed_size: 0
    .sgpr_count:     29
    .sgpr_spill_count: 0
    .symbol:         fft_rtc_back_len1452_factors_11_3_11_4_wgs_132_tpt_132_halfLds_sp_op_CI_CI_unitstride_sbrr_dirReg.kd
    .uniform_work_group_size: 1
    .uses_dynamic_stack: false
    .vgpr_count:     90
    .vgpr_spill_count: 0
    .wavefront_size: 32
    .workgroup_processor_mode: 1
amdhsa.target:   amdgcn-amd-amdhsa--gfx1030
amdhsa.version:
  - 1
  - 2
...

	.end_amdgpu_metadata
